;; amdgpu-corpus repo=ROCm/rocFFT kind=compiled arch=gfx1030 opt=O3
	.text
	.amdgcn_target "amdgcn-amd-amdhsa--gfx1030"
	.amdhsa_code_object_version 6
	.protected	fft_rtc_back_len288_factors_6_6_4_2_wgs_120_tpt_24_halfLds_sp_op_CI_CI_unitstride_sbrr_R2C_dirReg ; -- Begin function fft_rtc_back_len288_factors_6_6_4_2_wgs_120_tpt_24_halfLds_sp_op_CI_CI_unitstride_sbrr_R2C_dirReg
	.globl	fft_rtc_back_len288_factors_6_6_4_2_wgs_120_tpt_24_halfLds_sp_op_CI_CI_unitstride_sbrr_R2C_dirReg
	.p2align	8
	.type	fft_rtc_back_len288_factors_6_6_4_2_wgs_120_tpt_24_halfLds_sp_op_CI_CI_unitstride_sbrr_R2C_dirReg,@function
fft_rtc_back_len288_factors_6_6_4_2_wgs_120_tpt_24_halfLds_sp_op_CI_CI_unitstride_sbrr_R2C_dirReg: ; @fft_rtc_back_len288_factors_6_6_4_2_wgs_120_tpt_24_halfLds_sp_op_CI_CI_unitstride_sbrr_R2C_dirReg
; %bb.0:
	s_load_dwordx4 s[12:15], s[4:5], 0x0
	v_mul_u32_u24_e32 v1, 0xaab, v0
	s_clause 0x1
	s_load_dwordx4 s[8:11], s[4:5], 0x58
	s_load_dwordx4 s[16:19], s[4:5], 0x18
	v_mov_b32_e32 v7, 0
	v_mov_b32_e32 v17, 0
	;; [unrolled: 1-line block ×3, first 2 shown]
	v_lshrrev_b32_e32 v1, 16, v1
	v_mad_u64_u32 v[3:4], null, s6, 5, v[1:2]
	v_mov_b32_e32 v4, v7
	v_mov_b32_e32 v1, v17
	;; [unrolled: 1-line block ×5, first 2 shown]
	s_waitcnt lgkmcnt(0)
	v_cmp_lt_u64_e64 s0, s[14:15], 2
	s_and_b32 vcc_lo, exec_lo, s0
	s_cbranch_vccnz .LBB0_8
; %bb.1:
	s_load_dwordx2 s[0:1], s[4:5], 0x10
	v_mov_b32_e32 v17, 0
	v_mov_b32_e32 v18, 0
	s_add_u32 s2, s18, 8
	v_mov_b32_e32 v10, v4
	s_addc_u32 s3, s19, 0
	v_mov_b32_e32 v1, v17
	v_mov_b32_e32 v9, v3
	s_add_u32 s6, s16, 8
	v_mov_b32_e32 v2, v18
	s_addc_u32 s7, s17, 0
	s_mov_b64 s[22:23], 1
	s_waitcnt lgkmcnt(0)
	s_add_u32 s20, s0, 8
	s_addc_u32 s21, s1, 0
.LBB0_2:                                ; =>This Inner Loop Header: Depth=1
	s_load_dwordx2 s[24:25], s[20:21], 0x0
                                        ; implicit-def: $vgpr5_vgpr6
	s_mov_b32 s0, exec_lo
	s_waitcnt lgkmcnt(0)
	v_or_b32_e32 v8, s25, v10
	v_cmpx_ne_u64_e32 0, v[7:8]
	s_xor_b32 s1, exec_lo, s0
	s_cbranch_execz .LBB0_4
; %bb.3:                                ;   in Loop: Header=BB0_2 Depth=1
	v_cvt_f32_u32_e32 v4, s24
	v_cvt_f32_u32_e32 v5, s25
	s_sub_u32 s0, 0, s24
	s_subb_u32 s26, 0, s25
	v_fmac_f32_e32 v4, 0x4f800000, v5
	v_rcp_f32_e32 v4, v4
	v_mul_f32_e32 v4, 0x5f7ffffc, v4
	v_mul_f32_e32 v5, 0x2f800000, v4
	v_trunc_f32_e32 v5, v5
	v_fmac_f32_e32 v4, 0xcf800000, v5
	v_cvt_u32_f32_e32 v5, v5
	v_cvt_u32_f32_e32 v4, v4
	v_mul_lo_u32 v6, s0, v5
	v_mul_hi_u32 v8, s0, v4
	v_mul_lo_u32 v11, s26, v4
	v_add_nc_u32_e32 v6, v8, v6
	v_mul_lo_u32 v8, s0, v4
	v_add_nc_u32_e32 v6, v6, v11
	v_mul_hi_u32 v11, v4, v8
	v_mul_lo_u32 v12, v4, v6
	v_mul_hi_u32 v13, v4, v6
	v_mul_hi_u32 v14, v5, v8
	v_mul_lo_u32 v8, v5, v8
	v_mul_hi_u32 v15, v5, v6
	v_mul_lo_u32 v6, v5, v6
	v_add_co_u32 v11, vcc_lo, v11, v12
	v_add_co_ci_u32_e32 v12, vcc_lo, 0, v13, vcc_lo
	v_add_co_u32 v8, vcc_lo, v11, v8
	v_add_co_ci_u32_e32 v8, vcc_lo, v12, v14, vcc_lo
	v_add_co_ci_u32_e32 v11, vcc_lo, 0, v15, vcc_lo
	v_add_co_u32 v6, vcc_lo, v8, v6
	v_add_co_ci_u32_e32 v8, vcc_lo, 0, v11, vcc_lo
	v_add_co_u32 v4, vcc_lo, v4, v6
	v_add_co_ci_u32_e32 v5, vcc_lo, v5, v8, vcc_lo
	v_mul_hi_u32 v6, s0, v4
	v_mul_lo_u32 v11, s26, v4
	v_mul_lo_u32 v8, s0, v5
	v_add_nc_u32_e32 v6, v6, v8
	v_mul_lo_u32 v8, s0, v4
	v_add_nc_u32_e32 v6, v6, v11
	v_mul_hi_u32 v11, v4, v8
	v_mul_lo_u32 v12, v4, v6
	v_mul_hi_u32 v13, v4, v6
	v_mul_hi_u32 v14, v5, v8
	v_mul_lo_u32 v8, v5, v8
	v_mul_hi_u32 v15, v5, v6
	v_mul_lo_u32 v6, v5, v6
	v_add_co_u32 v11, vcc_lo, v11, v12
	v_add_co_ci_u32_e32 v12, vcc_lo, 0, v13, vcc_lo
	v_add_co_u32 v8, vcc_lo, v11, v8
	v_add_co_ci_u32_e32 v8, vcc_lo, v12, v14, vcc_lo
	v_add_co_ci_u32_e32 v11, vcc_lo, 0, v15, vcc_lo
	v_add_co_u32 v6, vcc_lo, v8, v6
	v_add_co_ci_u32_e32 v8, vcc_lo, 0, v11, vcc_lo
	v_add_co_u32 v6, vcc_lo, v4, v6
	v_add_co_ci_u32_e32 v8, vcc_lo, v5, v8, vcc_lo
	v_mul_hi_u32 v15, v9, v6
	v_mad_u64_u32 v[11:12], null, v10, v6, 0
	v_mad_u64_u32 v[4:5], null, v9, v8, 0
	;; [unrolled: 1-line block ×3, first 2 shown]
	v_add_co_u32 v4, vcc_lo, v15, v4
	v_add_co_ci_u32_e32 v5, vcc_lo, 0, v5, vcc_lo
	v_add_co_u32 v4, vcc_lo, v4, v11
	v_add_co_ci_u32_e32 v4, vcc_lo, v5, v12, vcc_lo
	v_add_co_ci_u32_e32 v5, vcc_lo, 0, v14, vcc_lo
	v_add_co_u32 v8, vcc_lo, v4, v13
	v_add_co_ci_u32_e32 v6, vcc_lo, 0, v5, vcc_lo
	v_mul_lo_u32 v11, s25, v8
	v_mad_u64_u32 v[4:5], null, s24, v8, 0
	v_mul_lo_u32 v12, s24, v6
	v_sub_co_u32 v4, vcc_lo, v9, v4
	v_add3_u32 v5, v5, v12, v11
	v_sub_nc_u32_e32 v11, v10, v5
	v_subrev_co_ci_u32_e64 v11, s0, s25, v11, vcc_lo
	v_add_co_u32 v12, s0, v8, 2
	v_add_co_ci_u32_e64 v13, s0, 0, v6, s0
	v_sub_co_u32 v14, s0, v4, s24
	v_sub_co_ci_u32_e32 v5, vcc_lo, v10, v5, vcc_lo
	v_subrev_co_ci_u32_e64 v11, s0, 0, v11, s0
	v_cmp_le_u32_e32 vcc_lo, s24, v14
	v_cmp_eq_u32_e64 s0, s25, v5
	v_cndmask_b32_e64 v14, 0, -1, vcc_lo
	v_cmp_le_u32_e32 vcc_lo, s25, v11
	v_cndmask_b32_e64 v15, 0, -1, vcc_lo
	v_cmp_le_u32_e32 vcc_lo, s24, v4
	;; [unrolled: 2-line block ×3, first 2 shown]
	v_cndmask_b32_e64 v16, 0, -1, vcc_lo
	v_cmp_eq_u32_e32 vcc_lo, s25, v11
	v_cndmask_b32_e64 v4, v16, v4, s0
	v_cndmask_b32_e32 v11, v15, v14, vcc_lo
	v_add_co_u32 v14, vcc_lo, v8, 1
	v_add_co_ci_u32_e32 v15, vcc_lo, 0, v6, vcc_lo
	v_cmp_ne_u32_e32 vcc_lo, 0, v11
	v_cndmask_b32_e32 v5, v15, v13, vcc_lo
	v_cndmask_b32_e32 v11, v14, v12, vcc_lo
	v_cmp_ne_u32_e32 vcc_lo, 0, v4
	v_cndmask_b32_e32 v6, v6, v5, vcc_lo
	v_cndmask_b32_e32 v5, v8, v11, vcc_lo
.LBB0_4:                                ;   in Loop: Header=BB0_2 Depth=1
	s_andn2_saveexec_b32 s0, s1
	s_cbranch_execz .LBB0_6
; %bb.5:                                ;   in Loop: Header=BB0_2 Depth=1
	v_cvt_f32_u32_e32 v4, s24
	s_sub_i32 s1, 0, s24
	v_rcp_iflag_f32_e32 v4, v4
	v_mul_f32_e32 v4, 0x4f7ffffe, v4
	v_cvt_u32_f32_e32 v4, v4
	v_mul_lo_u32 v5, s1, v4
	v_mul_hi_u32 v5, v4, v5
	v_add_nc_u32_e32 v4, v4, v5
	v_mul_hi_u32 v4, v9, v4
	v_mul_lo_u32 v5, v4, s24
	v_add_nc_u32_e32 v6, 1, v4
	v_sub_nc_u32_e32 v5, v9, v5
	v_subrev_nc_u32_e32 v8, s24, v5
	v_cmp_le_u32_e32 vcc_lo, s24, v5
	v_cndmask_b32_e32 v5, v5, v8, vcc_lo
	v_cndmask_b32_e32 v4, v4, v6, vcc_lo
	v_cmp_le_u32_e32 vcc_lo, s24, v5
	v_add_nc_u32_e32 v6, 1, v4
	v_cndmask_b32_e32 v5, v4, v6, vcc_lo
	v_mov_b32_e32 v6, v7
.LBB0_6:                                ;   in Loop: Header=BB0_2 Depth=1
	s_or_b32 exec_lo, exec_lo, s0
	v_mul_lo_u32 v4, v6, s24
	v_mul_lo_u32 v8, v5, s25
	s_load_dwordx2 s[0:1], s[6:7], 0x0
	v_mad_u64_u32 v[11:12], null, v5, s24, 0
	s_load_dwordx2 s[24:25], s[2:3], 0x0
	s_add_u32 s22, s22, 1
	s_addc_u32 s23, s23, 0
	s_add_u32 s2, s2, 8
	s_addc_u32 s3, s3, 0
	s_add_u32 s6, s6, 8
	v_add3_u32 v4, v12, v8, v4
	v_sub_co_u32 v8, vcc_lo, v9, v11
	s_addc_u32 s7, s7, 0
	s_add_u32 s20, s20, 8
	v_sub_co_ci_u32_e32 v4, vcc_lo, v10, v4, vcc_lo
	s_addc_u32 s21, s21, 0
	s_waitcnt lgkmcnt(0)
	v_mul_lo_u32 v9, s0, v4
	v_mul_lo_u32 v10, s1, v8
	v_mad_u64_u32 v[17:18], null, s0, v8, v[17:18]
	v_mul_lo_u32 v4, s24, v4
	v_mul_lo_u32 v11, s25, v8
	v_mad_u64_u32 v[1:2], null, s24, v8, v[1:2]
	v_cmp_ge_u64_e64 s0, s[22:23], s[14:15]
	v_add3_u32 v18, v10, v18, v9
	v_add3_u32 v2, v11, v2, v4
	s_and_b32 vcc_lo, exec_lo, s0
	s_cbranch_vccnz .LBB0_8
; %bb.7:                                ;   in Loop: Header=BB0_2 Depth=1
	v_mov_b32_e32 v10, v6
	v_mov_b32_e32 v9, v5
	s_branch .LBB0_2
.LBB0_8:
	s_load_dwordx2 s[0:1], s[4:5], 0x28
	v_mul_hi_u32 v4, 0xcccccccd, v3
	v_mul_hi_u32 v20, 0xaaaaaab, v0
	s_lshl_b64 s[4:5], s[14:15], 3
                                        ; implicit-def: $vgpr7
                                        ; implicit-def: $vgpr13
                                        ; implicit-def: $vgpr11
                                        ; implicit-def: $vgpr15
                                        ; implicit-def: $vgpr9
	s_add_u32 s2, s18, s4
	s_addc_u32 s3, s19, s5
	v_lshrrev_b32_e32 v4, 2, v4
	v_lshl_add_u32 v4, v4, 2, v4
	v_sub_nc_u32_e32 v19, v3, v4
	s_waitcnt lgkmcnt(0)
	v_cmp_gt_u64_e32 vcc_lo, s[0:1], v[5:6]
	v_cmp_le_u64_e64 s0, s[0:1], v[5:6]
                                        ; implicit-def: $vgpr3
	s_and_saveexec_b32 s1, s0
	s_xor_b32 s0, exec_lo, s1
	s_cbranch_execz .LBB0_10
; %bb.9:
	v_mul_u32_u24_e32 v3, 24, v20
	v_mov_b32_e32 v4, 0
                                        ; implicit-def: $vgpr20
                                        ; implicit-def: $vgpr17_vgpr18
	v_sub_nc_u32_e32 v3, v0, v3
	v_mov_b32_e32 v8, v4
	v_mov_b32_e32 v14, v4
	;; [unrolled: 1-line block ×4, first 2 shown]
	v_add_nc_u32_e32 v7, 24, v3
	v_add_nc_u32_e32 v13, 48, v3
	v_or_b32_e32 v11, 0x60, v3
	v_add_nc_u32_e32 v15, 0x48, v3
	v_add_nc_u32_e32 v9, 0x78, v3
	v_mov_b32_e32 v10, v4
                                        ; implicit-def: $vgpr0
.LBB0_10:
	s_or_saveexec_b32 s1, s0
	v_mul_u32_u24_e32 v19, 0x121, v19
	v_lshlrev_b32_e32 v24, 3, v19
	s_xor_b32 exec_lo, exec_lo, s1
	s_cbranch_execz .LBB0_12
; %bb.11:
	s_add_u32 s4, s16, s4
	s_addc_u32 s5, s17, s5
	v_mul_u32_u24_e32 v11, 24, v20
	s_load_dwordx2 s[4:5], s[4:5], 0x0
	v_lshlrev_b64 v[9:10], 3, v[17:18]
	s_waitcnt lgkmcnt(0)
	v_mul_lo_u32 v7, s5, v5
	v_mul_lo_u32 v8, s4, v6
	v_mad_u64_u32 v[3:4], null, s4, v5, 0
	v_add3_u32 v4, v4, v8, v7
	v_lshlrev_b64 v[7:8], 3, v[3:4]
	v_sub_nc_u32_e32 v3, v0, v11
	v_lshlrev_b32_e32 v11, 3, v3
	v_add_co_u32 v0, s0, s8, v7
	v_add_co_ci_u32_e64 v4, s0, s9, v8, s0
	v_add_nc_u32_e32 v13, 48, v3
	v_add_co_u32 v0, s0, v0, v9
	v_add_co_ci_u32_e64 v4, s0, v4, v10, s0
	v_add_nc_u32_e32 v15, 0x48, v3
	v_add_co_u32 v7, s0, v0, v11
	v_add_co_ci_u32_e64 v8, s0, 0, v4, s0
	s_clause 0x3
	global_load_dwordx2 v[17:18], v[7:8], off
	global_load_dwordx2 v[19:20], v[7:8], off offset:192
	global_load_dwordx2 v[21:22], v[7:8], off offset:384
	global_load_dwordx2 v[25:26], v[7:8], off offset:576
	v_add_co_u32 v9, s0, 0x800, v7
	v_add_co_ci_u32_e64 v10, s0, 0, v8, s0
	s_clause 0x7
	global_load_dwordx2 v[27:28], v[7:8], off offset:768
	global_load_dwordx2 v[29:30], v[7:8], off offset:960
	;; [unrolled: 1-line block ×8, first 2 shown]
	v_mov_b32_e32 v4, 0
	v_add3_u32 v0, 0, v24, v11
	v_add_nc_u32_e32 v7, 24, v3
	v_or_b32_e32 v11, 0x60, v3
	v_add_nc_u32_e32 v9, 0x78, v3
	v_mov_b32_e32 v8, v4
	v_mov_b32_e32 v14, v4
	;; [unrolled: 1-line block ×5, first 2 shown]
	s_waitcnt vmcnt(10)
	ds_write2_b64 v0, v[17:18], v[19:20] offset1:24
	s_waitcnt vmcnt(8)
	ds_write2_b64 v0, v[21:22], v[25:26] offset0:48 offset1:72
	v_add_nc_u32_e32 v17, 0x400, v0
	s_waitcnt vmcnt(6)
	ds_write2_b64 v0, v[27:28], v[29:30] offset0:96 offset1:120
	s_waitcnt vmcnt(4)
	ds_write2_b64 v0, v[31:32], v[33:34] offset0:144 offset1:168
	;; [unrolled: 2-line block ×4, first 2 shown]
.LBB0_12:
	s_or_b32 exec_lo, exec_lo, s1
	v_lshlrev_b32_e32 v26, 3, v3
	v_add_nc_u32_e32 v0, 0, v24
	s_load_dwordx2 s[2:3], s[2:3], 0x0
	s_waitcnt lgkmcnt(0)
	s_barrier
	v_add3_u32 v23, 0, v26, v24
	buffer_gl0_inv
	v_add_nc_u32_e32 v25, v0, v26
	v_cmp_gt_u32_e64 s0, 12, v3
	s_add_u32 s1, s12, 0x8d0
	ds_read2_b64 v[17:20], v23 offset0:72 offset1:96
	ds_read2_b64 v[27:30], v23 offset0:168 offset1:192
	;; [unrolled: 1-line block ×5, first 2 shown]
	ds_read_b64 v[21:22], v25
	ds_read_b64 v[43:44], v23 offset:2112
	s_waitcnt lgkmcnt(0)
	s_barrier
	buffer_gl0_inv
	s_addc_u32 s4, s13, 0
	s_mov_b32 s5, exec_lo
	v_add_f32_e32 v45, v19, v29
	v_sub_f32_e32 v46, v20, v30
	v_add_f32_e32 v51, v34, v38
	v_sub_f32_e32 v50, v38, v42
	v_add_f32_e32 v38, v38, v42
	v_add_f32_e32 v48, v33, v37
	;; [unrolled: 1-line block ×3, first 2 shown]
	v_sub_f32_e32 v37, v37, v41
	v_add_f32_e32 v52, v35, v39
	v_add_f32_e32 v53, v31, v35
	v_sub_f32_e32 v57, v35, v39
	v_sub_f32_e32 v35, v19, v29
	v_add_f32_e32 v19, v21, v19
	v_fma_f32 v34, -0.5, v38, v34
	v_add_f32_e32 v47, v20, v30
	v_add_f32_e32 v20, v22, v20
	v_fma_f32 v33, -0.5, v49, v33
	v_add_f32_e32 v19, v19, v29
	v_fmamk_f32 v29, v37, 0x3f5db3d7, v34
	v_fmac_f32_e32 v34, 0xbf5db3d7, v37
	v_sub_f32_e32 v54, v36, v40
	v_add_f32_e32 v55, v32, v36
	v_add_f32_e32 v56, v36, v40
	v_fmac_f32_e32 v22, -0.5, v47
	v_add_f32_e32 v20, v20, v30
	v_fmamk_f32 v30, v50, 0xbf5db3d7, v33
	v_fmac_f32_e32 v33, 0x3f5db3d7, v50
	v_mul_f32_e32 v36, -0.5, v34
	v_fma_f32 v21, -0.5, v45, v21
	v_fmamk_f32 v47, v35, 0x3f5db3d7, v22
	v_fmac_f32_e32 v22, 0xbf5db3d7, v35
	v_mul_f32_e32 v35, 0xbf5db3d7, v34
	v_mul_f32_e32 v49, 0xbf5db3d7, v29
	v_mul_f32_e32 v50, 0.5, v29
	v_fmac_f32_e32 v36, 0x3f5db3d7, v33
	v_add_f32_e32 v38, v51, v42
	v_fmamk_f32 v45, v46, 0xbf5db3d7, v21
	v_fmac_f32_e32 v21, 0x3f5db3d7, v46
	v_fmac_f32_e32 v35, -0.5, v33
	v_fmac_f32_e32 v49, 0.5, v30
	v_fmac_f32_e32 v50, 0x3f5db3d7, v30
	v_add_f32_e32 v30, v22, v36
	v_add_f32_e32 v37, v48, v41
	v_sub_f32_e32 v34, v22, v36
	v_add_f32_e32 v36, v20, v38
	v_sub_f32_e32 v38, v20, v38
	v_fma_f32 v20, -0.5, v52, v31
	v_add_f32_e32 v31, v28, v44
	v_add_f32_e32 v29, v21, v35
	v_sub_f32_e32 v33, v21, v35
	v_add_f32_e32 v35, v19, v37
	v_sub_f32_e32 v37, v19, v37
	v_add_f32_e32 v19, v53, v39
	v_add_f32_e32 v21, v55, v40
	;; [unrolled: 1-line block ×4, first 2 shown]
	v_fmac_f32_e32 v18, -0.5, v31
	v_sub_f32_e32 v31, v27, v43
	v_add_f32_e32 v27, v17, v27
	v_fma_f32 v39, -0.5, v39, v17
	v_sub_f32_e32 v17, v28, v44
	v_add_f32_e32 v42, v47, v50
	v_fmamk_f32 v28, v31, 0x3f5db3d7, v18
	v_sub_f32_e32 v46, v47, v50
	v_fmac_f32_e32 v18, 0xbf5db3d7, v31
	v_add_f32_e32 v31, v27, v43
	v_fmamk_f32 v27, v17, 0xbf5db3d7, v39
	v_mul_f32_e32 v47, 0xbf5db3d7, v28
	v_fmamk_f32 v22, v54, 0xbf5db3d7, v20
	v_mul_f32_e32 v50, 0.5, v28
	v_add_f32_e32 v41, v45, v49
	v_sub_f32_e32 v45, v45, v49
	v_fmac_f32_e32 v47, 0.5, v27
	v_mul_f32_e32 v49, 0xbf5db3d7, v18
	v_mul_f32_e32 v51, -0.5, v18
	v_and_b32_e32 v18, 0xff, v3
	v_add_f32_e32 v44, v40, v44
	v_fmac_f32_e32 v50, 0x3f5db3d7, v27
	v_add_f32_e32 v27, v22, v47
	v_sub_f32_e32 v47, v22, v47
	v_and_b32_e32 v22, 0xff, v7
	v_fmac_f32_e32 v39, 0x3f5db3d7, v17
	v_mul_lo_u16 v52, 0xab, v18
	v_fmac_f32_e32 v32, -0.5, v56
	v_add_f32_e32 v18, v21, v44
	v_sub_f32_e32 v44, v21, v44
	v_mul_lo_u16 v21, 0xab, v22
	v_fmac_f32_e32 v20, 0x3f5db3d7, v54
	v_fmac_f32_e32 v49, -0.5, v39
	v_add_f32_e32 v17, v19, v31
	v_sub_f32_e32 v43, v19, v31
	v_lshrrev_b16 v19, 10, v52
	v_fmamk_f32 v48, v57, 0x3f5db3d7, v32
	v_fmac_f32_e32 v32, 0xbf5db3d7, v57
	v_fmac_f32_e32 v51, 0x3f5db3d7, v39
	v_lshrrev_b16 v21, 10, v21
	v_add_f32_e32 v39, v20, v49
	v_sub_f32_e32 v31, v20, v49
	v_mul_lo_u16 v20, v19, 6
	v_add_f32_e32 v40, v32, v51
	v_sub_f32_e32 v32, v32, v51
	v_mul_i32_i24_e32 v22, 6, v7
	v_mul_lo_u16 v51, v21, 6
	v_add_f32_e32 v28, v48, v50
	v_sub_f32_e32 v48, v48, v50
	v_mad_u32_u24 v49, v3, 40, v23
	v_sub_nc_u16 v20, v3, v20
	v_mov_b32_e32 v50, 5
	v_lshl_add_u32 v58, v22, 3, v0
	v_sub_nc_u16 v22, v7, v51
	ds_write2_b64 v49, v[35:36], v[41:42] offset1:1
	ds_write2_b64 v49, v[29:30], v[37:38] offset0:2 offset1:3
	v_mul_u32_u24_sdwa v35, v20, v50 dst_sel:DWORD dst_unused:UNUSED_PAD src0_sel:BYTE_0 src1_sel:DWORD
	ds_write2_b64 v49, v[45:46], v[33:34] offset0:4 offset1:5
	ds_write2_b64 v58, v[17:18], v[27:28] offset1:1
	ds_write2_b64 v58, v[39:40], v[43:44] offset0:2 offset1:3
	v_mul_u32_u24_sdwa v18, v22, v50 dst_sel:DWORD dst_unused:UNUSED_PAD src0_sel:BYTE_0 src1_sel:DWORD
	ds_write2_b64 v58, v[47:48], v[31:32] offset0:4 offset1:5
	s_waitcnt lgkmcnt(0)
	v_lshlrev_b32_e32 v17, 3, v35
	s_barrier
	v_lshlrev_b32_e32 v27, 3, v18
	buffer_gl0_inv
	s_clause 0x5
	global_load_dwordx4 v[30:33], v17, s[12:13] offset:16
	global_load_dwordx4 v[34:37], v27, s[12:13] offset:16
	global_load_dwordx4 v[38:41], v17, s[12:13]
	global_load_dwordx4 v[42:45], v27, s[12:13]
	global_load_dwordx2 v[17:18], v17, s[12:13] offset:32
	global_load_dwordx2 v[54:55], v27, s[12:13] offset:32
	ds_read2_b64 v[46:49], v23 offset0:144 offset1:168
	ds_read2_b64 v[50:53], v23 offset0:192 offset1:216
	v_lshl_add_u32 v29, v13, 3, v0
	v_lshl_add_u32 v27, v11, 3, v0
	v_and_b32_e32 v19, 0xffff, v19
	v_and_b32_e32 v21, 0xffff, v21
	v_lshlrev_b64 v[11:12], 3, v[11:12]
	ds_read_b64 v[56:57], v29
	v_mad_u32_u24 v19, 0x120, v19, 0
	v_mad_u32_u24 v64, 0x120, v21, 0
	s_waitcnt vmcnt(5) lgkmcnt(2)
	v_mul_f32_e32 v59, v31, v47
	v_mul_f32_e32 v28, v31, v46
	s_waitcnt lgkmcnt(1)
	v_mul_f32_e32 v60, v33, v51
	v_mul_f32_e32 v31, v33, v50
	s_waitcnt vmcnt(4)
	v_mul_f32_e32 v61, v49, v35
	v_mul_f32_e32 v35, v48, v35
	v_fmac_f32_e32 v59, v30, v46
	v_fma_f32 v62, v30, v47, -v28
	v_lshl_add_u32 v30, v15, 3, v0
	v_fmac_f32_e32 v60, v32, v50
	v_fma_f32 v50, v32, v51, -v31
	v_fmac_f32_e32 v61, v48, v34
	v_fma_f32 v63, v49, v34, -v35
	ds_read_b64 v[34:35], v30
	ds_read_b64 v[32:33], v27
	v_mul_f32_e32 v51, v53, v37
	v_mul_f32_e32 v37, v52, v37
	v_lshl_add_u32 v28, v9, 3, v0
	v_mad_i32_i24 v31, 0xffffffd8, v7, v58
	v_fmac_f32_e32 v51, v52, v36
	v_fma_f32 v52, v53, v36, -v37
	ds_read_b64 v[36:37], v28
	ds_read_b64 v[46:47], v31
	;; [unrolled: 1-line block ×3, first 2 shown]
	s_waitcnt vmcnt(3) lgkmcnt(5)
	v_mul_f32_e32 v53, v39, v57
	v_mul_f32_e32 v39, v39, v56
	v_fmac_f32_e32 v53, v38, v56
	v_fma_f32 v56, v38, v57, -v39
	v_mov_b32_e32 v39, 0
	s_waitcnt lgkmcnt(3)
	v_mul_f32_e32 v57, v41, v33
	v_mul_f32_e32 v38, v41, v32
	s_waitcnt vmcnt(2)
	v_mul_f32_e32 v41, v35, v43
	v_fmac_f32_e32 v57, v40, v32
	v_fma_f32 v40, v40, v33, -v38
	v_mul_f32_e32 v33, v34, v43
	s_waitcnt lgkmcnt(2)
	v_mul_f32_e32 v43, v37, v45
	v_mul_f32_e32 v38, v36, v45
	v_add_nc_u32_e32 v32, 0x400, v23
	v_fmac_f32_e32 v41, v34, v42
	v_fma_f32 v42, v35, v42, -v33
	v_fmac_f32_e32 v43, v36, v44
	v_fma_f32 v44, v37, v44, -v38
	ds_read2_b64 v[34:37], v32 offset0:112 offset1:136
	v_mov_b32_e32 v45, 3
	v_add_nc_u32_e32 v33, -12, v3
	v_mul_u32_u24_e32 v38, 3, v3
	s_waitcnt vmcnt(0) lgkmcnt(0)
	s_barrier
	v_lshlrev_b32_sdwa v20, v45, v20 dst_sel:DWORD dst_unused:UNUSED_PAD src0_sel:DWORD src1_sel:BYTE_0
	v_cndmask_b32_e64 v33, v33, v7, s0
	v_lshlrev_b32_e32 v58, 3, v38
	v_lshlrev_b32_sdwa v45, v45, v22 dst_sel:DWORD dst_unused:UNUSED_PAD src0_sel:DWORD src1_sel:BYTE_0
	buffer_gl0_inv
	v_add3_u32 v65, v19, v20, v24
	v_mul_i32_i24_e32 v38, 3, v33
	v_add3_u32 v64, v64, v45, v24
	v_lshlrev_b64 v[21:22], 3, v[38:39]
	v_add_f32_e32 v38, v40, v50
	v_sub_f32_e32 v39, v57, v60
	v_mul_f32_e32 v19, v35, v18
	v_mul_f32_e32 v18, v34, v18
	v_mul_f32_e32 v20, v37, v55
	v_add_co_u32 v21, s0, s12, v21
	v_fmac_f32_e32 v19, v34, v17
	v_fma_f32 v17, v35, v17, -v18
	v_mul_f32_e32 v18, v36, v55
	v_fmac_f32_e32 v20, v36, v54
	v_sub_f32_e32 v36, v40, v50
	v_add_f32_e32 v45, v59, v19
	v_sub_f32_e32 v55, v59, v19
	v_fma_f32 v18, v37, v54, -v18
	v_add_f32_e32 v37, v49, v40
	v_add_f32_e32 v40, v53, v59
	;; [unrolled: 1-line block ×9, first 2 shown]
	v_fmac_f32_e32 v49, -0.5, v38
	v_add_f32_e32 v38, v43, v51
	v_sub_f32_e32 v43, v43, v51
	v_fmac_f32_e32 v53, -0.5, v45
	v_add_f32_e32 v45, v44, v52
	v_sub_f32_e32 v44, v44, v52
	v_add_f32_e32 v50, v50, v51
	v_add_f32_e32 v51, v42, v63
	;; [unrolled: 1-line block ×5, first 2 shown]
	v_sub_f32_e32 v57, v62, v17
	v_add_f32_e32 v54, v54, v17
	v_add_f32_e32 v17, v41, v61
	v_fmac_f32_e32 v56, -0.5, v59
	v_add_f32_e32 v34, v34, v60
	v_add_f32_e32 v59, v61, v20
	v_sub_f32_e32 v60, v61, v20
	v_fma_f32 v46, -0.5, v38, v46
	v_add_f32_e32 v38, v51, v18
	v_fmac_f32_e32 v42, -0.5, v52
	v_fmac_f32_e32 v47, -0.5, v45
	v_add_f32_e32 v45, v17, v20
	v_fma_f32 v48, -0.5, v35, v48
	v_fmamk_f32 v52, v39, 0x3f5db3d7, v49
	v_fmac_f32_e32 v49, 0xbf5db3d7, v39
	v_fmamk_f32 v39, v57, 0xbf5db3d7, v53
	v_fmac_f32_e32 v53, 0x3f5db3d7, v57
	;; [unrolled: 2-line block ×3, first 2 shown]
	v_sub_f32_e32 v61, v63, v18
	v_fmac_f32_e32 v41, -0.5, v59
	v_add_f32_e32 v18, v37, v54
	v_sub_f32_e32 v20, v37, v54
	v_add_f32_e32 v35, v40, v38
	v_sub_f32_e32 v37, v40, v38
	v_fmamk_f32 v38, v60, 0x3f5db3d7, v42
	v_fmac_f32_e32 v42, 0xbf5db3d7, v60
	v_fmamk_f32 v51, v36, 0xbf5db3d7, v48
	v_fmac_f32_e32 v48, 0x3f5db3d7, v36
	v_add_f32_e32 v17, v34, v19
	v_sub_f32_e32 v19, v34, v19
	v_fmamk_f32 v54, v44, 0xbf5db3d7, v46
	v_fmac_f32_e32 v46, 0x3f5db3d7, v44
	v_add_f32_e32 v34, v50, v45
	v_sub_f32_e32 v36, v50, v45
	v_mul_f32_e32 v44, 0xbf5db3d7, v57
	v_mul_f32_e32 v45, 0.5, v57
	v_mul_f32_e32 v40, 0xbf5db3d7, v56
	v_mul_f32_e32 v50, -0.5, v56
	v_fmamk_f32 v55, v43, 0x3f5db3d7, v47
	v_fmac_f32_e32 v47, 0xbf5db3d7, v43
	v_fmamk_f32 v43, v61, 0xbf5db3d7, v41
	v_mul_f32_e32 v56, 0xbf5db3d7, v38
	v_mul_f32_e32 v59, 0.5, v38
	v_fmac_f32_e32 v41, 0x3f5db3d7, v61
	v_mul_f32_e32 v57, 0xbf5db3d7, v42
	v_mul_f32_e32 v60, -0.5, v42
	v_fmac_f32_e32 v44, 0.5, v39
	v_fmac_f32_e32 v45, 0x3f5db3d7, v39
	v_fmac_f32_e32 v40, -0.5, v53
	v_fmac_f32_e32 v50, 0x3f5db3d7, v53
	v_fmac_f32_e32 v56, 0.5, v43
	v_fmac_f32_e32 v59, 0x3f5db3d7, v43
	v_fmac_f32_e32 v57, -0.5, v41
	v_fmac_f32_e32 v60, 0x3f5db3d7, v41
	v_add_f32_e32 v42, v51, v44
	v_add_f32_e32 v43, v52, v45
	;; [unrolled: 1-line block ×4, first 2 shown]
	v_sub_f32_e32 v41, v49, v50
	v_sub_f32_e32 v40, v48, v40
	;; [unrolled: 1-line block ×4, first 2 shown]
	v_add_f32_e32 v51, v54, v56
	v_add_f32_e32 v52, v55, v59
	;; [unrolled: 1-line block ×3, first 2 shown]
	v_sub_f32_e32 v50, v47, v60
	v_add_f32_e32 v47, v46, v57
	v_sub_f32_e32 v49, v46, v57
	v_sub_f32_e32 v53, v54, v56
	;; [unrolled: 1-line block ×3, first 2 shown]
	ds_write2_b64 v65, v[17:18], v[42:43] offset1:6
	ds_write2_b64 v65, v[38:39], v[19:20] offset0:12 offset1:18
	ds_write2_b64 v65, v[44:45], v[40:41] offset0:24 offset1:30
	ds_write2_b64 v64, v[34:35], v[51:52] offset1:6
	ds_write2_b64 v64, v[47:48], v[36:37] offset0:12 offset1:18
	ds_write2_b64 v64, v[53:54], v[49:50] offset0:24 offset1:30
	s_waitcnt lgkmcnt(0)
	s_barrier
	buffer_gl0_inv
	global_load_dwordx4 v[17:20], v58, s[12:13] offset:240
	v_add_co_ci_u32_e64 v22, s0, s13, v22, s0
	s_clause 0x4
	global_load_dwordx4 v[34:37], v[21:22], off offset:240
	global_load_dwordx2 v[50:51], v58, s[12:13] offset:256
	global_load_dwordx4 v[38:41], v58, s[12:13] offset:528
	global_load_dwordx2 v[52:53], v[21:22], off offset:256
	global_load_dwordx2 v[54:55], v58, s[12:13] offset:544
	ds_read_b64 v[21:22], v30
	ds_read2_b64 v[42:45], v23 offset0:144 offset1:168
	ds_read_b64 v[56:57], v27
	ds_read_b64 v[58:59], v28
	ds_read2_b64 v[46:49], v23 offset0:192 offset1:216
	v_cmp_lt_u32_e64 s0, 11, v3
	s_waitcnt vmcnt(5) lgkmcnt(4)
	v_mul_f32_e32 v62, v18, v22
	v_mul_f32_e32 v18, v18, v21
	s_waitcnt vmcnt(4) lgkmcnt(3)
	v_mul_f32_e32 v65, v37, v45
	v_mul_f32_e32 v63, v20, v43
	;; [unrolled: 1-line block ×3, first 2 shown]
	v_fmac_f32_e32 v62, v17, v21
	v_fma_f32 v64, v17, v22, -v18
	v_mul_f32_e32 v17, v37, v44
	v_fmac_f32_e32 v65, v36, v44
	v_fmac_f32_e32 v63, v19, v42
	v_fma_f32 v66, v19, v43, -v20
	ds_read_b64 v[42:43], v31
	ds_read_b64 v[60:61], v29
	v_fma_f32 v44, v36, v45, -v17
	s_waitcnt lgkmcnt(4)
	v_mul_f32_e32 v45, v35, v57
	v_mul_f32_e32 v17, v35, v56
	s_waitcnt vmcnt(2) lgkmcnt(2)
	v_mul_f32_e32 v18, v46, v41
	v_lshlrev_b64 v[21:22], 3, v[3:4]
	v_lshlrev_b64 v[19:20], 3, v[7:8]
	v_fmac_f32_e32 v45, v34, v56
	v_fma_f32 v56, v34, v57, -v17
	ds_read2_b64 v[34:37], v32 offset0:112 offset1:136
	v_mul_f32_e32 v57, v51, v49
	v_mul_f32_e32 v17, v51, v48
	v_mul_f32_e32 v51, v47, v41
	v_fmac_f32_e32 v57, v50, v48
	v_fma_f32 v41, v50, v49, -v17
	v_mul_f32_e32 v48, v59, v39
	v_mul_f32_e32 v17, v58, v39
	v_fmac_f32_e32 v51, v46, v40
	v_fma_f32 v46, v47, v40, -v18
	ds_read_b64 v[39:40], v25
	v_fmac_f32_e32 v48, v58, v38
	v_fma_f32 v4, v59, v38, -v17
	v_cndmask_b32_e64 v47, 0, 0x480, s0
	v_sub_f32_e32 v41, v64, v41
	s_waitcnt lgkmcnt(3)
	v_sub_f32_e32 v50, v42, v65
	s_waitcnt lgkmcnt(2)
	v_sub_f32_e32 v51, v60, v51
	s_waitcnt vmcnt(0) lgkmcnt(0)
	v_mul_f32_e32 v38, v35, v53
	v_mul_f32_e32 v17, v34, v53
	;; [unrolled: 1-line block ×3, first 2 shown]
	v_add_nc_u32_e32 v47, 0, v47
	v_sub_f32_e32 v53, v61, v46
	v_fmac_f32_e32 v38, v34, v52
	v_mul_f32_e32 v34, v36, v55
	v_fmac_f32_e32 v8, v36, v54
	v_fma_f32 v35, v35, v52, -v17
	v_sub_f32_e32 v52, v43, v44
	v_sub_f32_e32 v38, v45, v38
	v_fma_f32 v36, v37, v54, -v34
	v_lshlrev_b32_e32 v37, 3, v33
	v_sub_f32_e32 v49, v40, v66
	v_sub_f32_e32 v44, v56, v35
	;; [unrolled: 1-line block ×4, first 2 shown]
	v_add3_u32 v24, v47, v37, v24
	v_sub_f32_e32 v47, v39, v63
	v_sub_f32_e32 v37, v62, v57
	v_fma_f32 v55, v40, 2.0, -v49
	v_fma_f32 v58, v64, 2.0, -v41
	;; [unrolled: 1-line block ×8, first 2 shown]
	v_add_f32_e32 v35, v47, v41
	v_sub_f32_e32 v36, v49, v37
	v_add_f32_e32 v37, v50, v44
	v_fma_f32 v60, v60, 2.0, -v51
	v_fma_f32 v61, v61, 2.0, -v53
	;; [unrolled: 1-line block ×4, first 2 shown]
	v_sub_f32_e32 v38, v52, v38
	v_sub_f32_e32 v40, v53, v8
	;; [unrolled: 1-line block ×4, first 2 shown]
	v_add_f32_e32 v39, v51, v46
	v_sub_f32_e32 v45, v59, v45
	v_sub_f32_e32 v46, v62, v56
	v_lshlrev_b64 v[17:18], 3, v[13:14]
	v_lshlrev_b64 v[13:14], 3, v[15:16]
	v_add_co_u32 v15, s0, s12, v21
	v_fma_f32 v43, v47, 2.0, -v35
	v_fma_f32 v44, v49, 2.0, -v36
	;; [unrolled: 1-line block ×3, first 2 shown]
	v_sub_f32_e32 v49, v60, v63
	v_sub_f32_e32 v50, v61, v4
	v_add_co_ci_u32_e64 v16, s0, s13, v22, s0
	v_fma_f32 v48, v52, 2.0, -v38
	v_fma_f32 v52, v53, 2.0, -v40
	;; [unrolled: 1-line block ×4, first 2 shown]
	v_add_co_u32 v33, s0, s12, v19
	v_fma_f32 v55, v59, 2.0, -v45
	v_fma_f32 v56, v62, 2.0, -v46
	v_add_co_ci_u32_e64 v34, s0, s13, v20, s0
	v_fma_f32 v51, v51, 2.0, -v39
	v_fma_f32 v57, v60, 2.0, -v49
	v_fma_f32 v58, v61, 2.0, -v50
	s_barrier
	buffer_gl0_inv
	ds_write2_b64 v23, v[41:42], v[35:36] offset0:72 offset1:108
	ds_write2_b64 v23, v[53:54], v[43:44] offset1:36
	ds_write2_b64 v24, v[55:56], v[47:48] offset1:36
	ds_write2_b64 v24, v[45:46], v[37:38] offset0:72 offset1:108
	ds_write2_b64 v23, v[57:58], v[51:52] offset0:156 offset1:192
	;; [unrolled: 1-line block ×3, first 2 shown]
	v_add_co_u32 v35, s0, s12, v17
	v_add_co_ci_u32_e64 v36, s0, s13, v18, s0
	s_waitcnt lgkmcnt(0)
	s_barrier
	buffer_gl0_inv
	s_clause 0x2
	global_load_dwordx2 v[15:16], v[15:16], off offset:1104
	global_load_dwordx2 v[45:46], v[33:34], off offset:1104
	;; [unrolled: 1-line block ×3, first 2 shown]
	v_add_co_u32 v33, s0, s12, v13
	v_add_co_ci_u32_e64 v34, s0, s13, v14, s0
	v_lshlrev_b64 v[8:9], 3, v[9:10]
	global_load_dwordx2 v[49:50], v[33:34], off offset:1104
	v_add_co_u32 v33, s0, s12, v11
	v_add_co_ci_u32_e64 v34, s0, s13, v12, s0
	v_add_co_u32 v35, s0, s12, v8
	v_add_co_ci_u32_e64 v36, s0, s13, v9, s0
	s_clause 0x1
	global_load_dwordx2 v[51:52], v[33:34], off offset:1104
	global_load_dwordx2 v[53:54], v[35:36], off offset:1104
	ds_read2_b64 v[33:36], v23 offset0:144 offset1:168
	ds_read2_b64 v[37:40], v23 offset0:192 offset1:216
	;; [unrolled: 1-line block ×3, first 2 shown]
	ds_read_b64 v[55:56], v25
	ds_read_b64 v[57:58], v29
	s_waitcnt vmcnt(5) lgkmcnt(4)
	v_mul_f32_e32 v4, v16, v34
	v_mul_f32_e32 v10, v16, v33
	s_waitcnt vmcnt(4)
	v_mul_f32_e32 v24, v46, v36
	v_mul_f32_e32 v46, v46, v35
	s_waitcnt vmcnt(3) lgkmcnt(3)
	v_mul_f32_e32 v59, v48, v38
	v_fmac_f32_e32 v4, v15, v33
	v_fma_f32 v10, v15, v34, -v10
	ds_read_b64 v[15:16], v31
	ds_read_b64 v[32:33], v27
	v_fmac_f32_e32 v24, v45, v35
	v_fma_f32 v60, v45, v36, -v46
	v_mul_f32_e32 v36, v48, v37
	ds_read_b64 v[34:35], v30
	ds_read_b64 v[45:46], v28
	s_waitcnt vmcnt(2)
	v_mul_f32_e32 v48, v50, v40
	v_fmac_f32_e32 v59, v47, v37
	s_waitcnt vmcnt(0) lgkmcnt(0)
	v_fma_f32 v47, v47, v38, -v36
	v_mul_f32_e32 v36, v50, v39
	v_fmac_f32_e32 v48, v49, v39
	s_barrier
	buffer_gl0_inv
	v_mul_f32_e32 v50, v52, v42
	v_fma_f32 v49, v49, v40, -v36
	v_mul_f32_e32 v36, v52, v41
	v_mul_f32_e32 v52, v44, v54
	;; [unrolled: 1-line block ×3, first 2 shown]
	v_fmac_f32_e32 v50, v51, v41
	v_sub_f32_e32 v38, v15, v24
	v_fma_f32 v51, v51, v42, -v36
	v_fmac_f32_e32 v52, v43, v53
	v_fma_f32 v44, v44, v53, -v37
	v_sub_f32_e32 v36, v55, v4
	v_sub_f32_e32 v37, v56, v10
	;; [unrolled: 1-line block ×11, first 2 shown]
	v_fma_f32 v51, v55, 2.0, -v36
	v_fma_f32 v52, v56, 2.0, -v37
	;; [unrolled: 1-line block ×12, first 2 shown]
	ds_write2_b64 v23, v[51:52], v[36:37] offset1:144
	ds_write2_b64 v31, v[15:16], v[38:39] offset1:144
	;; [unrolled: 1-line block ×6, first 2 shown]
	s_waitcnt lgkmcnt(0)
	s_barrier
	buffer_gl0_inv
	ds_read_b64 v[23:24], v25
	v_sub_nc_u32_e32 v4, v0, v26
                                        ; implicit-def: $vgpr15
                                        ; implicit-def: $vgpr10
                                        ; implicit-def: $vgpr26
	v_cmpx_ne_u32_e32 0, v3
	s_xor_b32 s5, exec_lo, s5
	s_cbranch_execz .LBB0_14
; %bb.13:
	v_add_co_u32 v15, s0, s1, v21
	v_add_co_ci_u32_e64 v16, s0, s4, v22, s0
	global_load_dwordx2 v[21:22], v[15:16], off
	ds_read_b64 v[15:16], v4 offset:2304
	s_waitcnt lgkmcnt(0)
	v_sub_f32_e32 v10, v23, v15
	v_add_f32_e32 v26, v16, v24
	v_sub_f32_e32 v16, v24, v16
	v_add_f32_e32 v15, v15, v23
	v_mul_f32_e32 v24, 0.5, v10
	v_mul_f32_e32 v23, 0.5, v26
	;; [unrolled: 1-line block ×3, first 2 shown]
	s_waitcnt vmcnt(0)
	v_mul_f32_e32 v26, v22, v24
	v_fma_f32 v31, v23, v22, v16
	v_fma_f32 v16, v23, v22, -v16
	v_fma_f32 v10, 0.5, v15, v26
	v_fma_f32 v15, v15, 0.5, -v26
	v_fma_f32 v26, -v21, v24, v31
	v_fma_f32 v16, -v21, v24, v16
	v_fmac_f32_e32 v10, v21, v23
	v_fma_f32 v15, -v21, v23, v15
                                        ; implicit-def: $vgpr23_vgpr24
.LBB0_14:
	s_andn2_saveexec_b32 s0, s5
	s_cbranch_execz .LBB0_16
; %bb.15:
	ds_read_b32 v16, v0 offset:1156
	s_waitcnt lgkmcnt(1)
	v_add_f32_e32 v10, v23, v24
	v_sub_f32_e32 v15, v23, v24
	v_mov_b32_e32 v26, 0
	s_waitcnt lgkmcnt(0)
	v_xor_b32_e32 v21, 0x80000000, v16
	v_mov_b32_e32 v16, 0
	ds_write_b32 v0, v21 offset:1156
.LBB0_16:
	s_or_b32 exec_lo, exec_lo, s0
	v_add_co_u32 v19, s0, s1, v19
	v_add_co_ci_u32_e64 v20, s0, s4, v20, s0
	v_add_co_u32 v17, s0, s1, v17
	v_add_co_ci_u32_e64 v18, s0, s4, v18, s0
	global_load_dwordx2 v[19:20], v[19:20], off
	v_add_co_u32 v13, s0, s1, v13
	global_load_dwordx2 v[17:18], v[17:18], off
	v_add_co_ci_u32_e64 v14, s0, s4, v14, s0
	v_add_co_u32 v11, s0, s1, v11
	v_add_co_ci_u32_e64 v12, s0, s4, v12, s0
	global_load_dwordx2 v[13:14], v[13:14], off
	v_add_co_u32 v8, s0, s1, v8
	global_load_dwordx2 v[11:12], v[11:12], off
	v_add_co_ci_u32_e64 v9, s0, s4, v9, s0
	v_lshl_add_u32 v7, v7, 3, v0
	global_load_dwordx2 v[8:9], v[8:9], off
	ds_write2_b32 v25, v10, v26 offset1:1
	ds_write_b64 v4, v[15:16] offset:2304
	ds_read_b64 v[15:16], v7
	ds_read_b64 v[21:22], v4 offset:2112
	s_waitcnt lgkmcnt(0)
	v_sub_f32_e32 v10, v15, v21
	v_add_f32_e32 v23, v16, v22
	v_sub_f32_e32 v16, v16, v22
	v_add_f32_e32 v15, v15, v21
	v_mul_f32_e32 v10, 0.5, v10
	v_mul_f32_e32 v22, 0.5, v23
	v_mul_f32_e32 v16, 0.5, v16
	s_waitcnt vmcnt(4)
	v_mul_f32_e32 v21, v20, v10
	v_fma_f32 v23, v22, v20, v16
	v_fma_f32 v16, v22, v20, -v16
	v_fma_f32 v20, 0.5, v15, v21
	v_fma_f32 v15, v15, 0.5, -v21
	v_fma_f32 v21, -v19, v10, v23
	v_fma_f32 v16, -v19, v10, v16
	v_fmac_f32_e32 v20, v19, v22
	v_fma_f32 v15, -v19, v22, v15
	ds_write2_b32 v7, v20, v21 offset1:1
	ds_write_b64 v4, v[15:16] offset:2112
	ds_read_b64 v[15:16], v29
	ds_read_b64 v[19:20], v4 offset:1920
	s_waitcnt lgkmcnt(0)
	v_sub_f32_e32 v7, v15, v19
	v_add_f32_e32 v10, v16, v20
	v_sub_f32_e32 v16, v16, v20
	v_add_f32_e32 v15, v15, v19
	v_mul_f32_e32 v7, 0.5, v7
	v_mul_f32_e32 v10, 0.5, v10
	v_mul_f32_e32 v16, 0.5, v16
	s_waitcnt vmcnt(3)
	v_mul_f32_e32 v19, v18, v7
	v_fma_f32 v20, v10, v18, v16
	v_fma_f32 v16, v10, v18, -v16
	v_fma_f32 v18, 0.5, v15, v19
	v_fma_f32 v15, v15, 0.5, -v19
	v_fma_f32 v19, -v17, v7, v20
	v_fma_f32 v16, -v17, v7, v16
	v_fmac_f32_e32 v18, v17, v10
	v_fma_f32 v15, -v17, v10, v15
	;; [unrolled: 22-line block ×5, first 2 shown]
	ds_write2_b32 v28, v11, v12 offset1:1
	ds_write_b64 v4, v[8:9] offset:1344
	s_waitcnt lgkmcnt(0)
	s_barrier
	buffer_gl0_inv
	s_and_saveexec_b32 s0, vcc_lo
	s_cbranch_execz .LBB0_19
; %bb.17:
	v_mul_lo_u32 v7, s3, v5
	v_mul_lo_u32 v6, s2, v6
	v_mad_u64_u32 v[9:10], null, s2, v5, 0
	v_mov_b32_e32 v4, 0
	v_lshlrev_b64 v[1:2], 3, v[1:2]
	v_lshl_add_u32 v0, v3, 3, v0
	v_add_nc_u32_e32 v13, 24, v3
	v_add_nc_u32_e32 v15, 48, v3
	v_mov_b32_e32 v14, v4
	v_add3_u32 v10, v10, v6, v7
	v_lshlrev_b64 v[19:20], 3, v[3:4]
	ds_read2_b64 v[5:8], v0 offset1:24
	v_mov_b32_e32 v16, v4
	v_lshlrev_b64 v[13:14], 3, v[13:14]
	v_lshlrev_b64 v[17:18], 3, v[9:10]
	ds_read2_b64 v[9:12], v0 offset0:48 offset1:72
	v_add_nc_u32_e32 v21, 0x48, v3
	v_lshlrev_b64 v[15:16], 3, v[15:16]
	v_mov_b32_e32 v22, v4
	v_add_nc_u32_e32 v25, 0x60, v3
	v_add_co_u32 v17, vcc_lo, s10, v17
	v_add_co_ci_u32_e32 v18, vcc_lo, s11, v18, vcc_lo
	v_mov_b32_e32 v26, v4
	v_add_co_u32 v1, vcc_lo, v17, v1
	v_add_co_ci_u32_e32 v2, vcc_lo, v18, v2, vcc_lo
	v_lshlrev_b64 v[21:22], 3, v[21:22]
	v_add_co_u32 v17, vcc_lo, v1, v19
	v_add_co_ci_u32_e32 v18, vcc_lo, v2, v20, vcc_lo
	v_add_co_u32 v19, vcc_lo, v1, v13
	v_add_co_ci_u32_e32 v20, vcc_lo, v2, v14, vcc_lo
	;; [unrolled: 2-line block ×3, first 2 shown]
	ds_read2_b64 v[13:16], v0 offset0:96 offset1:120
	s_waitcnt lgkmcnt(2)
	global_store_dwordx2 v[17:18], v[5:6], off
	global_store_dwordx2 v[19:20], v[7:8], off
	s_waitcnt lgkmcnt(1)
	global_store_dwordx2 v[23:24], v[9:10], off
	v_lshlrev_b64 v[5:6], 3, v[25:26]
	v_add_co_u32 v7, vcc_lo, v1, v21
	v_add_co_ci_u32_e32 v8, vcc_lo, v2, v22, vcc_lo
	v_add_nc_u32_e32 v9, 0x78, v3
	v_add_co_u32 v5, vcc_lo, v1, v5
	v_add_co_ci_u32_e32 v6, vcc_lo, v2, v6, vcc_lo
	v_mov_b32_e32 v10, v4
	global_store_dwordx2 v[7:8], v[11:12], off
	s_waitcnt lgkmcnt(0)
	global_store_dwordx2 v[5:6], v[13:14], off
	v_add_nc_u32_e32 v17, 0x90, v3
	v_mov_b32_e32 v18, v4
	ds_read2_b64 v[5:8], v0 offset0:144 offset1:168
	v_lshlrev_b64 v[9:10], 3, v[9:10]
	v_add_nc_u32_e32 v13, 0xa8, v3
	v_mov_b32_e32 v14, v4
	v_lshlrev_b64 v[11:12], 3, v[17:18]
	v_add_nc_u32_e32 v17, 0xc0, v3
	v_add_nc_u32_e32 v19, 0x400, v0
	v_add_co_u32 v9, vcc_lo, v1, v9
	v_lshlrev_b64 v[13:14], 3, v[13:14]
	v_add_co_ci_u32_e32 v10, vcc_lo, v2, v10, vcc_lo
	v_add_co_u32 v11, vcc_lo, v1, v11
	v_add_co_ci_u32_e32 v12, vcc_lo, v2, v12, vcc_lo
	v_add_co_u32 v13, vcc_lo, v1, v13
	v_add_co_ci_u32_e32 v14, vcc_lo, v2, v14, vcc_lo
	global_store_dwordx2 v[9:10], v[15:16], off
	s_waitcnt lgkmcnt(0)
	global_store_dwordx2 v[11:12], v[5:6], off
	global_store_dwordx2 v[13:14], v[7:8], off
	v_lshlrev_b64 v[9:10], 3, v[17:18]
	v_add_nc_u32_e32 v11, 0xd8, v3
	v_mov_b32_e32 v12, v4
	v_add_nc_u32_e32 v13, 0xf0, v3
	v_mov_b32_e32 v14, v4
	ds_read2_b64 v[5:8], v0 offset0:192 offset1:216
	v_add_co_u32 v15, vcc_lo, v1, v9
	v_lshlrev_b64 v[17:18], 3, v[11:12]
	v_add_co_ci_u32_e32 v16, vcc_lo, v2, v10, vcc_lo
	ds_read2_b64 v[9:12], v19 offset0:112 offset1:136
	v_add_nc_u32_e32 v19, 0x108, v3
	v_mov_b32_e32 v20, v4
	v_lshlrev_b64 v[13:14], 3, v[13:14]
	v_add_co_u32 v17, vcc_lo, v1, v17
	v_add_co_ci_u32_e32 v18, vcc_lo, v2, v18, vcc_lo
	v_lshlrev_b64 v[19:20], 3, v[19:20]
	v_add_co_u32 v13, vcc_lo, v1, v13
	v_add_co_ci_u32_e32 v14, vcc_lo, v2, v14, vcc_lo
	v_add_co_u32 v19, vcc_lo, v1, v19
	v_add_co_ci_u32_e32 v20, vcc_lo, v2, v20, vcc_lo
	v_cmp_eq_u32_e32 vcc_lo, 23, v3
	s_waitcnt lgkmcnt(1)
	global_store_dwordx2 v[15:16], v[5:6], off
	global_store_dwordx2 v[17:18], v[7:8], off
	s_waitcnt lgkmcnt(0)
	global_store_dwordx2 v[13:14], v[9:10], off
	global_store_dwordx2 v[19:20], v[11:12], off
	s_and_b32 exec_lo, exec_lo, vcc_lo
	s_cbranch_execz .LBB0_19
; %bb.18:
	ds_read_b64 v[3:4], v0 offset:2120
	v_add_co_u32 v0, vcc_lo, 0x800, v1
	v_add_co_ci_u32_e32 v1, vcc_lo, 0, v2, vcc_lo
	s_waitcnt lgkmcnt(0)
	global_store_dwordx2 v[0:1], v[3:4], off offset:256
.LBB0_19:
	s_endpgm
	.section	.rodata,"a",@progbits
	.p2align	6, 0x0
	.amdhsa_kernel fft_rtc_back_len288_factors_6_6_4_2_wgs_120_tpt_24_halfLds_sp_op_CI_CI_unitstride_sbrr_R2C_dirReg
		.amdhsa_group_segment_fixed_size 0
		.amdhsa_private_segment_fixed_size 0
		.amdhsa_kernarg_size 104
		.amdhsa_user_sgpr_count 6
		.amdhsa_user_sgpr_private_segment_buffer 1
		.amdhsa_user_sgpr_dispatch_ptr 0
		.amdhsa_user_sgpr_queue_ptr 0
		.amdhsa_user_sgpr_kernarg_segment_ptr 1
		.amdhsa_user_sgpr_dispatch_id 0
		.amdhsa_user_sgpr_flat_scratch_init 0
		.amdhsa_user_sgpr_private_segment_size 0
		.amdhsa_wavefront_size32 1
		.amdhsa_uses_dynamic_stack 0
		.amdhsa_system_sgpr_private_segment_wavefront_offset 0
		.amdhsa_system_sgpr_workgroup_id_x 1
		.amdhsa_system_sgpr_workgroup_id_y 0
		.amdhsa_system_sgpr_workgroup_id_z 0
		.amdhsa_system_sgpr_workgroup_info 0
		.amdhsa_system_vgpr_workitem_id 0
		.amdhsa_next_free_vgpr 67
		.amdhsa_next_free_sgpr 27
		.amdhsa_reserve_vcc 1
		.amdhsa_reserve_flat_scratch 0
		.amdhsa_float_round_mode_32 0
		.amdhsa_float_round_mode_16_64 0
		.amdhsa_float_denorm_mode_32 3
		.amdhsa_float_denorm_mode_16_64 3
		.amdhsa_dx10_clamp 1
		.amdhsa_ieee_mode 1
		.amdhsa_fp16_overflow 0
		.amdhsa_workgroup_processor_mode 1
		.amdhsa_memory_ordered 1
		.amdhsa_forward_progress 0
		.amdhsa_shared_vgpr_count 0
		.amdhsa_exception_fp_ieee_invalid_op 0
		.amdhsa_exception_fp_denorm_src 0
		.amdhsa_exception_fp_ieee_div_zero 0
		.amdhsa_exception_fp_ieee_overflow 0
		.amdhsa_exception_fp_ieee_underflow 0
		.amdhsa_exception_fp_ieee_inexact 0
		.amdhsa_exception_int_div_zero 0
	.end_amdhsa_kernel
	.text
.Lfunc_end0:
	.size	fft_rtc_back_len288_factors_6_6_4_2_wgs_120_tpt_24_halfLds_sp_op_CI_CI_unitstride_sbrr_R2C_dirReg, .Lfunc_end0-fft_rtc_back_len288_factors_6_6_4_2_wgs_120_tpt_24_halfLds_sp_op_CI_CI_unitstride_sbrr_R2C_dirReg
                                        ; -- End function
	.section	.AMDGPU.csdata,"",@progbits
; Kernel info:
; codeLenInByte = 6720
; NumSgprs: 29
; NumVgprs: 67
; ScratchSize: 0
; MemoryBound: 0
; FloatMode: 240
; IeeeMode: 1
; LDSByteSize: 0 bytes/workgroup (compile time only)
; SGPRBlocks: 3
; VGPRBlocks: 8
; NumSGPRsForWavesPerEU: 29
; NumVGPRsForWavesPerEU: 67
; Occupancy: 12
; WaveLimiterHint : 1
; COMPUTE_PGM_RSRC2:SCRATCH_EN: 0
; COMPUTE_PGM_RSRC2:USER_SGPR: 6
; COMPUTE_PGM_RSRC2:TRAP_HANDLER: 0
; COMPUTE_PGM_RSRC2:TGID_X_EN: 1
; COMPUTE_PGM_RSRC2:TGID_Y_EN: 0
; COMPUTE_PGM_RSRC2:TGID_Z_EN: 0
; COMPUTE_PGM_RSRC2:TIDIG_COMP_CNT: 0
	.text
	.p2alignl 6, 3214868480
	.fill 48, 4, 3214868480
	.type	__hip_cuid_56f2c91d61a04034,@object ; @__hip_cuid_56f2c91d61a04034
	.section	.bss,"aw",@nobits
	.globl	__hip_cuid_56f2c91d61a04034
__hip_cuid_56f2c91d61a04034:
	.byte	0                               ; 0x0
	.size	__hip_cuid_56f2c91d61a04034, 1

	.ident	"AMD clang version 19.0.0git (https://github.com/RadeonOpenCompute/llvm-project roc-6.4.0 25133 c7fe45cf4b819c5991fe208aaa96edf142730f1d)"
	.section	".note.GNU-stack","",@progbits
	.addrsig
	.addrsig_sym __hip_cuid_56f2c91d61a04034
	.amdgpu_metadata
---
amdhsa.kernels:
  - .args:
      - .actual_access:  read_only
        .address_space:  global
        .offset:         0
        .size:           8
        .value_kind:     global_buffer
      - .offset:         8
        .size:           8
        .value_kind:     by_value
      - .actual_access:  read_only
        .address_space:  global
        .offset:         16
        .size:           8
        .value_kind:     global_buffer
      - .actual_access:  read_only
        .address_space:  global
        .offset:         24
        .size:           8
        .value_kind:     global_buffer
      - .actual_access:  read_only
        .address_space:  global
        .offset:         32
        .size:           8
        .value_kind:     global_buffer
      - .offset:         40
        .size:           8
        .value_kind:     by_value
      - .actual_access:  read_only
        .address_space:  global
        .offset:         48
        .size:           8
        .value_kind:     global_buffer
      - .actual_access:  read_only
        .address_space:  global
        .offset:         56
        .size:           8
        .value_kind:     global_buffer
      - .offset:         64
        .size:           4
        .value_kind:     by_value
      - .actual_access:  read_only
        .address_space:  global
        .offset:         72
        .size:           8
        .value_kind:     global_buffer
      - .actual_access:  read_only
        .address_space:  global
        .offset:         80
        .size:           8
        .value_kind:     global_buffer
      - .actual_access:  read_only
        .address_space:  global
        .offset:         88
        .size:           8
        .value_kind:     global_buffer
      - .actual_access:  write_only
        .address_space:  global
        .offset:         96
        .size:           8
        .value_kind:     global_buffer
    .group_segment_fixed_size: 0
    .kernarg_segment_align: 8
    .kernarg_segment_size: 104
    .language:       OpenCL C
    .language_version:
      - 2
      - 0
    .max_flat_workgroup_size: 120
    .name:           fft_rtc_back_len288_factors_6_6_4_2_wgs_120_tpt_24_halfLds_sp_op_CI_CI_unitstride_sbrr_R2C_dirReg
    .private_segment_fixed_size: 0
    .sgpr_count:     29
    .sgpr_spill_count: 0
    .symbol:         fft_rtc_back_len288_factors_6_6_4_2_wgs_120_tpt_24_halfLds_sp_op_CI_CI_unitstride_sbrr_R2C_dirReg.kd
    .uniform_work_group_size: 1
    .uses_dynamic_stack: false
    .vgpr_count:     67
    .vgpr_spill_count: 0
    .wavefront_size: 32
    .workgroup_processor_mode: 1
amdhsa.target:   amdgcn-amd-amdhsa--gfx1030
amdhsa.version:
  - 1
  - 2
...

	.end_amdgpu_metadata
